;; amdgpu-corpus repo=ROCm/rocFFT kind=compiled arch=gfx950 opt=O3
	.text
	.amdgcn_target "amdgcn-amd-amdhsa--gfx950"
	.amdhsa_code_object_version 6
	.protected	fft_rtc_back_len160_factors_4_10_4_wgs_192_tpt_16_sp_op_CI_CI_sbcc_twdbase8_3step ; -- Begin function fft_rtc_back_len160_factors_4_10_4_wgs_192_tpt_16_sp_op_CI_CI_sbcc_twdbase8_3step
	.globl	fft_rtc_back_len160_factors_4_10_4_wgs_192_tpt_16_sp_op_CI_CI_sbcc_twdbase8_3step
	.p2align	8
	.type	fft_rtc_back_len160_factors_4_10_4_wgs_192_tpt_16_sp_op_CI_CI_sbcc_twdbase8_3step,@function
fft_rtc_back_len160_factors_4_10_4_wgs_192_tpt_16_sp_op_CI_CI_sbcc_twdbase8_3step: ; @fft_rtc_back_len160_factors_4_10_4_wgs_192_tpt_16_sp_op_CI_CI_sbcc_twdbase8_3step
; %bb.0:
	s_load_dwordx4 s[16:19], s[0:1], 0x18
	s_load_dwordx2 s[36:37], s[0:1], 0x28
	s_mov_b32 s3, 0
	s_mov_b64 s[26:27], 0
	s_waitcnt lgkmcnt(0)
	s_load_dwordx2 s[34:35], s[16:17], 0x8
	s_waitcnt lgkmcnt(0)
	s_add_u32 s4, s34, -1
	s_addc_u32 s5, s35, -1
	s_add_u32 s6, 0, 0x55540000
	s_addc_u32 s7, 0, 0x55
	s_mul_hi_u32 s9, s6, -12
	s_add_i32 s7, s7, 0x15555500
	s_sub_i32 s9, s9, s6
	s_mul_i32 s12, s7, -12
	s_mul_i32 s8, s6, -12
	s_add_i32 s9, s9, s12
	s_mul_hi_u32 s10, s7, s8
	s_mul_i32 s11, s7, s8
	s_mul_i32 s13, s6, s9
	s_mul_hi_u32 s8, s6, s8
	s_mul_hi_u32 s12, s6, s9
	s_add_u32 s8, s8, s13
	s_addc_u32 s12, 0, s12
	s_add_u32 s8, s8, s11
	s_mul_hi_u32 s13, s7, s9
	s_addc_u32 s8, s12, s10
	s_addc_u32 s10, s13, 0
	s_mul_i32 s9, s7, s9
	s_add_u32 s8, s8, s9
	v_mov_b32_e32 v1, s8
	s_addc_u32 s9, 0, s10
	v_add_co_u32_e32 v1, vcc, s6, v1
	s_cmp_lg_u64 vcc, 0
	s_addc_u32 s6, s7, s9
	v_readfirstlane_b32 s9, v1
	s_mul_i32 s8, s4, s6
	s_mul_hi_u32 s10, s4, s9
	s_mul_hi_u32 s7, s4, s6
	s_add_u32 s8, s10, s8
	s_addc_u32 s7, 0, s7
	s_mul_hi_u32 s11, s5, s9
	s_mul_i32 s9, s5, s9
	s_add_u32 s8, s8, s9
	s_mul_hi_u32 s10, s5, s6
	s_addc_u32 s7, s7, s11
	s_addc_u32 s8, s10, 0
	s_mul_i32 s6, s5, s6
	s_add_u32 s6, s7, s6
	s_addc_u32 s7, 0, s8
	s_add_u32 s8, s6, 1
	s_addc_u32 s9, s7, 0
	s_add_u32 s10, s6, 2
	s_mul_i32 s12, s7, 12
	s_mul_hi_u32 s13, s6, 12
	s_addc_u32 s11, s7, 0
	s_add_i32 s13, s13, s12
	s_mul_i32 s12, s6, 12
	v_mov_b32_e32 v1, s12
	v_sub_co_u32_e32 v1, vcc, s4, v1
	s_cmp_lg_u64 vcc, 0
	s_subb_u32 s4, s5, s13
	v_subrev_co_u32_e32 v2, vcc, 12, v1
	s_cmp_lg_u64 vcc, 0
	s_subb_u32 s5, s4, 0
	v_readfirstlane_b32 s12, v2
	s_cmp_gt_u32 s12, 11
	s_cselect_b32 s12, -1, 0
	s_cmp_eq_u32 s5, 0
	s_cselect_b32 s5, s12, -1
	s_cmp_lg_u32 s5, 0
	s_cselect_b32 s5, s10, s8
	s_cselect_b32 s8, s11, s9
	v_readfirstlane_b32 s9, v1
	s_cmp_gt_u32 s9, 11
	s_cselect_b32 s9, -1, 0
	s_cmp_eq_u32 s4, 0
	s_cselect_b32 s4, s9, -1
	s_cmp_lg_u32 s4, 0
	s_cselect_b32 s5, s5, s6
	s_cselect_b32 s4, s8, s7
	s_add_u32 s40, s5, 1
	s_addc_u32 s41, s4, 0
	v_mov_b64_e32 v[2:3], s[40:41]
	v_cmp_lt_u64_e32 vcc, s[2:3], v[2:3]
	s_cbranch_vccnz .LBB0_2
; %bb.1:
	v_cvt_f32_u32_e32 v1, s40
	s_sub_i32 s4, 0, s40
	s_mov_b32 s27, s3
	v_rcp_iflag_f32_e32 v1, v1
	s_nop 0
	v_mul_f32_e32 v1, 0x4f7ffffe, v1
	v_cvt_u32_f32_e32 v1, v1
	s_nop 0
	v_readfirstlane_b32 s5, v1
	s_mul_i32 s4, s4, s5
	s_mul_hi_u32 s4, s5, s4
	s_add_i32 s5, s5, s4
	s_mul_hi_u32 s4, s2, s5
	s_mul_i32 s6, s4, s40
	s_sub_i32 s6, s2, s6
	s_add_i32 s5, s4, 1
	s_sub_i32 s7, s6, s40
	s_cmp_ge_u32 s6, s40
	s_cselect_b32 s4, s5, s4
	s_cselect_b32 s6, s7, s6
	s_add_i32 s5, s4, 1
	s_cmp_ge_u32 s6, s40
	s_cselect_b32 s26, s5, s4
.LBB0_2:
	s_load_dwordx4 s[8:11], s[0:1], 0x60
	s_load_dwordx4 s[20:23], s[18:19], 0x0
	;; [unrolled: 1-line block ×3, first 2 shown]
	s_load_dwordx2 s[28:29], s[0:1], 0x0
	s_load_dwordx4 s[12:15], s[0:1], 0x8
	s_mul_i32 s0, s26, s41
	s_mul_hi_u32 s1, s26, s40
	s_add_i32 s1, s1, s0
	s_mul_i32 s0, s26, s40
	s_sub_u32 s0, s2, s0
	s_subb_u32 s1, 0, s1
	s_mul_i32 s1, s1, 12
	s_mul_hi_u32 s24, s0, 12
	s_add_i32 s31, s24, s1
	s_mul_i32 s30, s0, 12
	s_waitcnt lgkmcnt(0)
	s_mul_i32 s0, s22, s31
	s_mul_hi_u32 s1, s22, s30
	s_add_i32 s0, s1, s0
	s_mul_i32 s1, s23, s30
	s_add_i32 s39, s0, s1
	s_mul_i32 s0, s6, s31
	s_mul_hi_u32 s1, s6, s30
	s_add_i32 s0, s1, s0
	s_mul_i32 s1, s7, s30
	s_add_i32 s25, s0, s1
	v_cmp_lt_u64_e64 s[0:1], s[14:15], 3
	s_mul_i32 s38, s22, s30
	s_mul_i32 s24, s6, s30
	s_and_b64 vcc, exec, s[0:1]
	s_cbranch_vccnz .LBB0_12
; %bb.3:
	s_add_u32 s42, s36, 16
	s_addc_u32 s43, s37, 0
	s_add_u32 s44, s18, 16
	s_addc_u32 s45, s19, 0
	;; [unrolled: 2-line block ×3, first 2 shown]
	s_mov_b64 s[46:47], 2
	s_mov_b32 s48, 0
	v_mov_b64_e32 v[2:3], s[14:15]
.LBB0_4:                                ; =>This Inner Loop Header: Depth=1
	s_load_dwordx2 s[50:51], s[16:17], 0x0
	s_waitcnt lgkmcnt(0)
	s_or_b64 s[0:1], s[26:27], s[50:51]
	s_mov_b32 s49, s1
	s_cmp_lg_u64 s[48:49], 0
	s_cbranch_scc0 .LBB0_9
; %bb.5:                                ;   in Loop: Header=BB0_4 Depth=1
	v_cvt_f32_u32_e32 v1, s50
	v_cvt_f32_u32_e32 v4, s51
	s_sub_u32 s0, 0, s50
	s_subb_u32 s1, 0, s51
	v_fmac_f32_e32 v1, 0x4f800000, v4
	v_rcp_f32_e32 v1, v1
	s_nop 0
	v_mul_f32_e32 v1, 0x5f7ffffc, v1
	v_mul_f32_e32 v4, 0x2f800000, v1
	v_trunc_f32_e32 v4, v4
	v_fmac_f32_e32 v1, 0xcf800000, v4
	v_cvt_u32_f32_e32 v4, v4
	v_cvt_u32_f32_e32 v1, v1
	v_readfirstlane_b32 s33, v4
	v_readfirstlane_b32 s49, v1
	s_mul_i32 s52, s0, s33
	s_mul_hi_u32 s54, s0, s49
	s_mul_i32 s53, s1, s49
	s_add_i32 s52, s54, s52
	s_mul_i32 s55, s0, s49
	s_add_i32 s52, s52, s53
	s_mul_hi_u32 s53, s49, s52
	s_mul_i32 s54, s49, s52
	s_mul_hi_u32 s49, s49, s55
	s_add_u32 s49, s49, s54
	s_addc_u32 s53, 0, s53
	s_mul_hi_u32 s56, s33, s55
	s_mul_i32 s55, s33, s55
	s_add_u32 s49, s49, s55
	s_mul_hi_u32 s54, s33, s52
	s_addc_u32 s49, s53, s56
	s_addc_u32 s53, s54, 0
	s_mul_i32 s52, s33, s52
	s_add_u32 s49, s49, s52
	s_addc_u32 s52, 0, s53
	v_add_co_u32_e32 v1, vcc, s49, v1
	s_cmp_lg_u64 vcc, 0
	s_addc_u32 s33, s33, s52
	v_readfirstlane_b32 s52, v1
	s_mul_i32 s49, s0, s33
	s_mul_hi_u32 s53, s0, s52
	s_add_i32 s49, s53, s49
	s_mul_i32 s1, s1, s52
	s_add_i32 s49, s49, s1
	s_mul_i32 s0, s0, s52
	s_mul_hi_u32 s53, s33, s0
	s_mul_i32 s54, s33, s0
	s_mul_i32 s56, s52, s49
	s_mul_hi_u32 s0, s52, s0
	s_mul_hi_u32 s55, s52, s49
	s_add_u32 s0, s0, s56
	s_addc_u32 s52, 0, s55
	s_add_u32 s0, s0, s54
	s_mul_hi_u32 s1, s33, s49
	s_addc_u32 s0, s52, s53
	s_addc_u32 s1, s1, 0
	s_mul_i32 s49, s33, s49
	s_add_u32 s0, s0, s49
	s_addc_u32 s1, 0, s1
	v_add_co_u32_e32 v1, vcc, s0, v1
	s_cmp_lg_u64 vcc, 0
	s_addc_u32 s0, s33, s1
	v_readfirstlane_b32 s49, v1
	s_mul_i32 s33, s26, s0
	s_mul_hi_u32 s52, s26, s49
	s_mul_hi_u32 s1, s26, s0
	s_add_u32 s33, s52, s33
	s_addc_u32 s1, 0, s1
	s_mul_hi_u32 s53, s27, s49
	s_mul_i32 s49, s27, s49
	s_add_u32 s33, s33, s49
	s_mul_hi_u32 s52, s27, s0
	s_addc_u32 s1, s1, s53
	s_addc_u32 s33, s52, 0
	s_mul_i32 s0, s27, s0
	s_add_u32 s49, s1, s0
	s_addc_u32 s33, 0, s33
	s_mul_i32 s0, s50, s33
	s_mul_hi_u32 s1, s50, s49
	s_add_i32 s0, s1, s0
	s_mul_i32 s1, s51, s49
	s_add_i32 s52, s0, s1
	s_mul_i32 s1, s50, s49
	v_mov_b32_e32 v1, s1
	s_sub_i32 s0, s27, s52
	v_sub_co_u32_e32 v1, vcc, s26, v1
	s_cmp_lg_u64 vcc, 0
	s_subb_u32 s53, s0, s51
	v_subrev_co_u32_e64 v4, s[0:1], s50, v1
	s_cmp_lg_u64 s[0:1], 0
	s_subb_u32 s0, s53, 0
	s_cmp_ge_u32 s0, s51
	v_readfirstlane_b32 s53, v4
	s_cselect_b32 s1, -1, 0
	s_cmp_ge_u32 s53, s50
	s_cselect_b32 s53, -1, 0
	s_cmp_eq_u32 s0, s51
	s_cselect_b32 s0, s53, s1
	s_add_u32 s1, s49, 1
	s_addc_u32 s53, s33, 0
	s_add_u32 s54, s49, 2
	s_addc_u32 s55, s33, 0
	s_cmp_lg_u32 s0, 0
	s_cselect_b32 s0, s54, s1
	s_cselect_b32 s1, s55, s53
	s_cmp_lg_u64 vcc, 0
	s_subb_u32 s52, s27, s52
	s_cmp_ge_u32 s52, s51
	v_readfirstlane_b32 s54, v1
	s_cselect_b32 s53, -1, 0
	s_cmp_ge_u32 s54, s50
	s_cselect_b32 s54, -1, 0
	s_cmp_eq_u32 s52, s51
	s_cselect_b32 s52, s54, s53
	s_cmp_lg_u32 s52, 0
	s_cselect_b32 s1, s1, s33
	s_cselect_b32 s0, s0, s49
	s_cbranch_execnz .LBB0_7
.LBB0_6:                                ;   in Loop: Header=BB0_4 Depth=1
	v_cvt_f32_u32_e32 v1, s50
	s_sub_i32 s0, 0, s50
	v_rcp_iflag_f32_e32 v1, v1
	s_nop 0
	v_mul_f32_e32 v1, 0x4f7ffffe, v1
	v_cvt_u32_f32_e32 v1, v1
	s_nop 0
	v_readfirstlane_b32 s1, v1
	s_mul_i32 s0, s0, s1
	s_mul_hi_u32 s0, s1, s0
	s_add_i32 s1, s1, s0
	s_mul_hi_u32 s0, s26, s1
	s_mul_i32 s33, s0, s50
	s_sub_i32 s33, s26, s33
	s_add_i32 s1, s0, 1
	s_sub_i32 s49, s33, s50
	s_cmp_ge_u32 s33, s50
	s_cselect_b32 s0, s1, s0
	s_cselect_b32 s33, s49, s33
	s_add_i32 s1, s0, 1
	s_cmp_ge_u32 s33, s50
	s_cselect_b32 s0, s1, s0
	s_mov_b32 s1, s48
.LBB0_7:                                ;   in Loop: Header=BB0_4 Depth=1
	s_mul_i32 s33, s50, s41
	s_mul_hi_u32 s41, s50, s40
	s_add_i32 s33, s41, s33
	s_mul_i32 s41, s51, s40
	s_add_i32 s41, s33, s41
	s_mul_i32 s33, s0, s51
	s_mul_hi_u32 s49, s0, s50
	s_load_dwordx2 s[52:53], s[44:45], 0x0
	s_add_i32 s33, s49, s33
	s_mul_i32 s49, s1, s50
	s_add_i32 s33, s33, s49
	s_mul_i32 s49, s0, s50
	s_sub_u32 s49, s26, s49
	s_subb_u32 s33, s27, s33
	s_waitcnt lgkmcnt(0)
	s_mul_i32 s26, s52, s33
	s_mul_hi_u32 s27, s52, s49
	s_mul_i32 s40, s50, s40
	s_add_i32 s50, s27, s26
	s_load_dwordx2 s[26:27], s[42:43], 0x0
	s_mul_i32 s51, s53, s49
	s_add_i32 s50, s50, s51
	s_mul_i32 s51, s52, s49
	s_add_u32 s38, s51, s38
	s_addc_u32 s39, s50, s39
	s_waitcnt lgkmcnt(0)
	s_mul_i32 s33, s26, s33
	s_mul_hi_u32 s50, s26, s49
	s_add_i32 s33, s50, s33
	s_mul_i32 s27, s27, s49
	s_add_i32 s33, s33, s27
	s_mul_i32 s26, s26, s49
	s_add_u32 s24, s26, s24
	s_addc_u32 s25, s33, s25
	s_add_u32 s46, s46, 1
	s_addc_u32 s47, s47, 0
	;; [unrolled: 2-line block ×4, first 2 shown]
	s_add_u32 s16, s16, 8
	v_cmp_ge_u64_e32 vcc, s[46:47], v[2:3]
	s_addc_u32 s17, s17, 0
	s_cbranch_vccnz .LBB0_10
; %bb.8:                                ;   in Loop: Header=BB0_4 Depth=1
	s_mov_b64 s[26:27], s[0:1]
	s_branch .LBB0_4
.LBB0_9:                                ;   in Loop: Header=BB0_4 Depth=1
                                        ; implicit-def: $sgpr0_sgpr1
	s_branch .LBB0_6
.LBB0_10:
	v_mov_b64_e32 v[2:3], s[40:41]
	v_cmp_lt_u64_e32 vcc, s[2:3], v[2:3]
	s_mov_b64 s[26:27], 0
	s_cbranch_vccnz .LBB0_12
; %bb.11:
	v_cvt_f32_u32_e32 v1, s40
	s_sub_i32 s0, 0, s40
	v_rcp_iflag_f32_e32 v1, v1
	s_nop 0
	v_mul_f32_e32 v1, 0x4f7ffffe, v1
	v_cvt_u32_f32_e32 v1, v1
	s_nop 0
	v_readfirstlane_b32 s1, v1
	s_mul_i32 s0, s0, s1
	s_mul_hi_u32 s0, s1, s0
	s_add_i32 s1, s1, s0
	s_mul_hi_u32 s0, s2, s1
	s_mul_i32 s3, s0, s40
	s_sub_i32 s2, s2, s3
	s_add_i32 s1, s0, 1
	s_sub_i32 s3, s2, s40
	s_cmp_ge_u32 s2, s40
	s_cselect_b32 s0, s1, s0
	s_cselect_b32 s2, s3, s2
	s_add_i32 s1, s0, 1
	s_cmp_ge_u32 s2, s40
	s_cselect_b32 s26, s1, s0
.LBB0_12:
	s_lshl_b64 s[16:17], s[14:15], 3
	s_add_u32 s14, s36, s16
	s_addc_u32 s15, s37, s17
	s_add_u32 s0, s30, 12
	v_mul_u32_u24_e32 v1, 0x1556, v0
	s_addc_u32 s1, s31, 0
	v_mov_b64_e32 v[2:3], s[34:35]
	v_lshrrev_b32_e32 v60, 16, v1
	v_cmp_le_u64_e32 vcc, s[0:1], v[2:3]
	v_mul_lo_u16_e32 v1, 12, v60
	s_mov_b32 s0, 0
	v_sub_u16_e32 v22, v0, v1
	v_mov_b32_e32 v23, s0
	v_lshl_add_u64 v[2:3], s[30:31], 0, v[22:23]
	v_cmp_gt_u64_e64 s[0:1], s[34:35], v[2:3]
	s_or_b64 s[2:3], vcc, s[0:1]
	v_lshlrev_b32_e32 v64, 3, v60
	v_add_u32_e32 v63, 16, v60
	v_or_b32_e32 v62, 32, v60
	v_add_u32_e32 v61, 48, v60
	v_or_b32_e32 v23, 64, v60
	s_and_saveexec_b64 s[0:1], s[2:3]
	s_cbranch_execz .LBB0_14
; %bb.13:
	s_add_u32 s16, s18, s16
	s_addc_u32 s17, s19, s17
	s_load_dwordx2 s[16:17], s[16:17], 0x0
	v_mad_u64_u32 v[2:3], s[18:19], s22, v22, 0
	v_mov_b32_e32 v4, v3
	v_add_u32_e32 v1, 0x50, v60
	s_waitcnt lgkmcnt(0)
	s_mul_i32 s17, s17, s26
	s_mul_hi_u32 s18, s16, s26
	s_mul_i32 s16, s16, s26
	s_add_i32 s17, s18, s17
	s_lshl_b64 s[16:17], s[16:17], 3
	v_mad_u64_u32 v[4:5], s[18:19], s23, v22, v[4:5]
	s_add_u32 s16, s8, s16
	v_mov_b32_e32 v3, v4
	v_mad_u64_u32 v[4:5], s[18:19], s20, v60, 0
	s_addc_u32 s17, s9, s17
	s_lshl_b64 s[8:9], s[38:39], 3
	v_mov_b32_e32 v6, v5
	s_add_u32 s8, s16, s8
	v_mad_u64_u32 v[6:7], s[18:19], s21, v60, v[6:7]
	s_addc_u32 s9, s17, s9
	v_mov_b32_e32 v5, v6
	v_lshl_add_u64 v[2:3], v[2:3], 3, s[8:9]
	v_mad_u64_u32 v[6:7], s[8:9], s20, v63, 0
	v_mov_b32_e32 v8, v7
	v_mad_u64_u32 v[8:9], s[8:9], s21, v63, v[8:9]
	v_mov_b32_e32 v7, v8
	;; [unrolled: 2-line block ×5, first 2 shown]
	v_mad_u64_u32 v[12:13], s[8:9], s21, v61, v[12:13]
	v_lshl_add_u64 v[4:5], v[4:5], 3, v[2:3]
	v_mov_b32_e32 v11, v12
	v_lshl_add_u64 v[6:7], v[6:7], 3, v[2:3]
	v_lshl_add_u64 v[8:9], v[8:9], 3, v[2:3]
	;; [unrolled: 1-line block ×3, first 2 shown]
	global_load_dwordx2 v[12:13], v[4:5], off
	global_load_dwordx2 v[14:15], v[6:7], off
	;; [unrolled: 1-line block ×4, first 2 shown]
	v_mad_u64_u32 v[4:5], s[8:9], s20, v23, 0
	v_mov_b32_e32 v6, v5
	v_mad_u64_u32 v[6:7], s[8:9], s21, v23, v[6:7]
	v_mov_b32_e32 v5, v6
	;; [unrolled: 2-line block ×3, first 2 shown]
	v_mad_u64_u32 v[8:9], s[8:9], s21, v1, v[8:9]
	v_or_b32_e32 v1, 0x60, v60
	v_mov_b32_e32 v7, v8
	v_mad_u64_u32 v[8:9], s[8:9], s20, v1, 0
	v_mov_b32_e32 v10, v9
	v_mad_u64_u32 v[10:11], s[8:9], s21, v1, v[10:11]
	v_add_u32_e32 v1, 0x70, v60
	v_mov_b32_e32 v9, v10
	v_mad_u64_u32 v[10:11], s[8:9], s20, v1, 0
	v_mov_b32_e32 v20, v11
	v_mad_u64_u32 v[20:21], s[8:9], s21, v1, v[20:21]
	v_lshl_add_u64 v[4:5], v[4:5], 3, v[2:3]
	v_mov_b32_e32 v11, v20
	v_or_b32_e32 v1, 0x80, v60
	v_lshl_add_u64 v[6:7], v[6:7], 3, v[2:3]
	v_lshl_add_u64 v[8:9], v[8:9], 3, v[2:3]
	;; [unrolled: 1-line block ×3, first 2 shown]
	global_load_dwordx2 v[20:21], v[4:5], off
	global_load_dwordx2 v[24:25], v[6:7], off
	;; [unrolled: 1-line block ×4, first 2 shown]
	v_mad_u64_u32 v[4:5], s[8:9], s20, v1, 0
	v_mov_b32_e32 v6, v5
	v_mad_u64_u32 v[6:7], s[8:9], s21, v1, v[6:7]
	v_add_u32_e32 v1, 0x90, v60
	v_mov_b32_e32 v5, v6
	v_mad_u64_u32 v[6:7], s[8:9], s20, v1, 0
	v_mov_b32_e32 v8, v7
	v_mad_u64_u32 v[8:9], s[8:9], s21, v1, v[8:9]
	v_lshl_add_u64 v[4:5], v[4:5], 3, v[2:3]
	v_mov_b32_e32 v7, v8
	v_lshl_add_u64 v[2:3], v[6:7], 3, v[2:3]
	global_load_dwordx2 v[6:7], v[4:5], off
	global_load_dwordx2 v[8:9], v[2:3], off
	v_mul_u32_u24_e32 v1, 0x500, v22
	v_add3_u32 v1, 0, v1, v64
	s_waitcnt vmcnt(8)
	ds_write2_b64 v1, v[12:13], v[14:15] offset1:16
	s_waitcnt vmcnt(6)
	ds_write2_b64 v1, v[16:17], v[18:19] offset0:32 offset1:48
	s_waitcnt vmcnt(4)
	ds_write2_b64 v1, v[20:21], v[24:25] offset0:64 offset1:80
	;; [unrolled: 2-line block ×4, first 2 shown]
.LBB0_14:
	s_or_b64 exec, exec, s[0:1]
	s_add_u32 s0, 0, 0x55540000
	s_addc_u32 s1, 0, 0x55
	s_add_i32 s1, s1, 0x15555500
	s_mul_hi_u32 s17, s0, -12
	s_sub_i32 s17, s17, s0
	s_mul_i32 s18, s1, -12
	s_load_dwordx2 s[8:9], s[14:15], 0x0
	s_mul_i32 s14, s0, -12
	s_add_i32 s17, s17, s18
	s_mul_hi_u32 s15, s1, s14
	s_mul_i32 s16, s1, s14
	s_mul_i32 s19, s0, s17
	s_mul_hi_u32 s14, s0, s14
	s_mul_hi_u32 s18, s0, s17
	s_add_u32 s14, s14, s19
	s_addc_u32 s18, 0, s18
	s_add_u32 s14, s14, s16
	s_mul_hi_u32 s19, s1, s17
	s_addc_u32 s14, s18, s15
	s_addc_u32 s15, s19, 0
	s_mul_i32 s16, s1, s17
	s_add_u32 s14, s14, s16
	v_mov_b32_e32 v1, s14
	s_addc_u32 s15, 0, s15
	v_add_co_u32_e32 v1, vcc, s0, v1
	v_lshrrev_b32_e32 v2, 4, v0
	v_mov_b32_e32 v3, 0
	s_cmp_lg_u64 vcc, 0
	v_lshl_add_u64 v[26:27], s[30:31], 0, v[2:3]
	s_addc_u32 s14, s1, s15
	v_mad_u64_u32 v[4:5], s[0:1], v26, s14, 0
	v_mul_hi_u32 v2, v26, v1
	v_lshl_add_u64 v[4:5], v[2:3], 0, v[4:5]
	v_mad_u64_u32 v[8:9], s[0:1], v27, v1, 0
	v_add_co_u32_e32 v1, vcc, v4, v8
	v_mad_u64_u32 v[6:7], s[0:1], v27, s14, 0
	s_nop 0
	v_addc_co_u32_e32 v2, vcc, v5, v9, vcc
	s_waitcnt lgkmcnt(0)
	s_nop 0
	v_addc_co_u32_e32 v7, vcc, 0, v7, vcc
	v_lshl_add_u64 v[2:3], v[2:3], 0, v[6:7]
	v_mad_u64_u32 v[4:5], s[0:1], v2, 12, 0
	v_mov_b32_e32 v2, v5
	v_mad_u64_u32 v[2:3], s[0:1], v3, 12, v[2:3]
	v_sub_co_u32_e32 v1, vcc, v26, v4
	s_barrier
	s_nop 0
	v_subb_co_u32_e32 v2, vcc, v27, v2, vcc
	v_subrev_co_u32_e32 v3, vcc, 12, v1
	v_and_b32_e32 v27, 15, v0
	s_nop 0
	v_subbrev_co_u32_e32 v4, vcc, 0, v2, vcc
	v_cmp_lt_u32_e32 vcc, 11, v3
	v_or_b32_e32 v50, 16, v27
	s_nop 0
	v_cndmask_b32_e64 v5, 0, -1, vcc
	v_cmp_eq_u32_e32 vcc, 0, v4
	v_or_b32_e32 v69, 32, v27
	v_cmp_lt_u32_e64 s[0:1], 7, v27
	v_cndmask_b32_e32 v4, -1, v5, vcc
	v_add_u32_e32 v5, -12, v3
	v_cmp_ne_u32_e32 vcc, 0, v4
	s_nop 1
	v_cndmask_b32_e32 v3, v3, v5, vcc
	v_cmp_lt_u32_e32 vcc, 11, v1
	s_nop 1
	v_cndmask_b32_e64 v4, 0, -1, vcc
	v_cmp_eq_u32_e32 vcc, 0, v2
	s_nop 1
	v_cndmask_b32_e32 v2, -1, v4, vcc
	v_cmp_ne_u32_e32 vcc, 0, v2
	s_nop 1
	v_cndmask_b32_e32 v1, v1, v3, vcc
	v_mul_u32_u24_e32 v66, 0xa0, v1
	v_lshlrev_b32_e32 v1, 3, v27
	v_lshlrev_b32_e32 v10, 3, v66
	v_add_u32_e32 v38, 0, v1
	v_add_u32_e32 v65, v38, v10
	ds_read2_b64 v[12:15], v65 offset0:16 offset1:32
	ds_read2_b64 v[16:19], v65 offset0:96 offset1:112
	;; [unrolled: 1-line block ×3, first 2 shown]
	ds_read_b64 v[2:3], v65 offset:1216
	v_add_u32_e32 v11, 0, v10
	v_add_u32_e32 v1, v11, v1
	s_waitcnt lgkmcnt(2)
	v_mov_b32_e32 v5, v18
	v_add_f32_e32 v6, v15, v15
	v_mov_b32_e32 v7, v14
	v_sub_f32_e32 v4, v15, v19
	s_waitcnt lgkmcnt(0)
	v_sub_f32_e32 v21, v28, v2
	v_pk_add_f32 v[8:9], v[6:7], v[4:5] neg_lo:[0,1] neg_hi:[0,1]
	v_sub_f32_e32 v3, v29, v3
	v_fma_f32 v20, v28, 2.0, -v21
	v_fma_f32 v6, v14, 2.0, -v9
	;; [unrolled: 1-line block ×3, first 2 shown]
	v_mov_b32_e32 v7, v4
	ds_read_b64 v[36:37], v1
	v_pk_add_f32 v[14:15], v[8:9], v[2:3]
	v_pk_add_f32 v[24:25], v[8:9], v[2:3] neg_lo:[0,1] neg_hi:[0,1]
	v_pk_add_f32 v[2:3], v[6:7], v[20:21] neg_lo:[0,1] neg_hi:[0,1]
	ds_read2_b64 v[18:21], v65 offset0:40 offset1:56
	ds_read2_b64 v[32:35], v65 offset0:120 offset1:136
	v_mov_b32_e32 v25, v15
	s_waitcnt lgkmcnt(2)
	v_pk_add_f32 v[14:15], v[36:37], v[30:31] neg_lo:[0,1] neg_hi:[0,1]
	v_mad_u32_u24 v5, v27, 24, v38
	v_pk_fma_f32 v[28:29], v[36:37], 2.0, v[14:15] op_sel_hi:[1,0,1] neg_lo:[0,0,1] neg_hi:[0,0,1]
	s_waitcnt lgkmcnt(0)
	v_pk_add_f32 v[30:31], v[18:19], v[32:33] neg_lo:[0,1] neg_hi:[0,1]
	v_add_u32_e32 v7, v5, v10
	v_pk_fma_f32 v[18:19], v[18:19], 2.0, v[30:31] op_sel_hi:[1,0,1] neg_lo:[0,0,1] neg_hi:[0,0,1]
	v_pk_add_f32 v[32:33], v[14:15], v[30:31] op_sel:[0,1] op_sel_hi:[1,0]
	v_pk_add_f32 v[30:31], v[14:15], v[30:31] op_sel:[0,1] op_sel_hi:[1,0] neg_lo:[0,1] neg_hi:[0,1]
	v_pk_add_f32 v[18:19], v[28:29], v[18:19] neg_lo:[0,1] neg_hi:[0,1]
	v_mov_b32_e32 v33, v31
	v_pk_fma_f32 v[28:29], v[28:29], 2.0, v[18:19] op_sel_hi:[1,0,1] neg_lo:[0,0,1] neg_hi:[0,0,1]
	v_pk_fma_f32 v[14:15], v[14:15], 2.0, v[32:33] op_sel_hi:[1,0,1] neg_lo:[0,0,1] neg_hi:[0,0,1]
	v_pk_add_f32 v[16:17], v[12:13], v[16:17] neg_lo:[0,1] neg_hi:[0,1]
	v_pk_add_f32 v[34:35], v[20:21], v[34:35] neg_lo:[0,1] neg_hi:[0,1]
	v_pk_fma_f32 v[12:13], v[12:13], 2.0, v[16:17] op_sel_hi:[1,0,1] neg_lo:[0,0,1] neg_hi:[0,0,1]
	v_pk_fma_f32 v[20:21], v[20:21], 2.0, v[34:35] op_sel_hi:[1,0,1] neg_lo:[0,0,1] neg_hi:[0,0,1]
	s_barrier
	ds_write2_b64 v7, v[28:29], v[14:15] offset1:1
	ds_write2_b64 v7, v[18:19], v[32:33] offset0:2 offset1:3
	v_pk_add_f32 v[14:15], v[16:17], v[34:35] op_sel:[0,1] op_sel_hi:[1,0]
	v_pk_add_f32 v[18:19], v[16:17], v[34:35] op_sel:[0,1] op_sel_hi:[1,0] neg_lo:[0,1] neg_hi:[0,1]
	v_pk_add_f32 v[20:21], v[12:13], v[20:21] neg_lo:[0,1] neg_hi:[0,1]
	v_mov_b32_e32 v15, v19
	v_lshl_add_u32 v11, v50, 5, v11
	v_pk_fma_f32 v[12:13], v[12:13], 2.0, v[20:21] op_sel_hi:[1,0,1] neg_lo:[0,0,1] neg_hi:[0,0,1]
	v_pk_fma_f32 v[16:17], v[16:17], 2.0, v[14:15] op_sel_hi:[1,0,1] neg_lo:[0,0,1] neg_hi:[0,0,1]
	v_cmp_gt_u32_e32 vcc, 8, v27
	ds_write2_b64 v11, v[12:13], v[16:17] offset1:1
	ds_write2_b64 v11, v[20:21], v[14:15] offset0:2 offset1:3
	s_and_saveexec_b64 s[14:15], vcc
	s_cbranch_execz .LBB0_16
; %bb.15:
	v_lshlrev_b32_e32 v7, 5, v69
	v_add3_u32 v11, 0, v7, v10
	v_mov_b32_e32 v12, v9
	v_mov_b32_e32 v7, v8
	;; [unrolled: 1-line block ×4, first 2 shown]
	v_pk_fma_f32 v[6:7], v[6:7], 2.0, v[8:9] op_sel_hi:[1,0,1] neg_lo:[0,0,1] neg_hi:[0,0,1]
	v_mov_b32_e32 v13, v4
	v_mov_b32_e32 v8, v25
	;; [unrolled: 1-line block ×3, first 2 shown]
	v_pk_fma_f32 v[8:9], v[12:13], 2.0, v[8:9] op_sel_hi:[1,0,1] neg_lo:[0,0,1] neg_hi:[0,0,1]
	ds_write2_b64 v11, v[6:7], v[8:9] offset1:1
	v_mov_b32_e32 v6, v2
	v_mov_b32_e32 v7, v24
	;; [unrolled: 1-line block ×4, first 2 shown]
	ds_write2_b64 v11, v[6:7], v[8:9] offset0:2 offset1:3
.LBB0_16:
	s_or_b64 exec, exec, s[14:15]
	v_and_b32_e32 v0, 3, v0
	v_mul_u32_u24_e32 v4, 9, v0
	v_lshlrev_b32_e32 v4, 3, v4
	s_waitcnt lgkmcnt(0)
	s_barrier
	global_load_dwordx4 v[6:9], v4, s[28:29] offset:48
	global_load_dwordx4 v[12:15], v4, s[28:29]
	global_load_dwordx4 v[16:19], v4, s[28:29] offset:16
	global_load_dwordx2 v[20:21], v4, s[28:29] offset:64
	global_load_dwordx4 v[28:31], v4, s[28:29] offset:32
	s_movk_i32 s14, 0xffe8
	v_mad_i32_i24 v68, v27, s14, v5
	v_add_u32_e32 v67, v68, v10
	ds_read2_b64 v[32:35], v65 offset0:80 offset1:96
	ds_read_b64 v[48:49], v65 offset:896
	ds_read_b64 v[52:53], v1
	ds_read2_b64 v[36:39], v67 offset0:16 offset1:32
	ds_read2_b64 v[40:43], v67 offset0:128 offset1:144
	;; [unrolled: 1-line block ×3, first 2 shown]
	v_lshrrev_b32_e32 v4, 2, v27
	v_mul_u32_u24_e32 v4, 40, v4
	v_or_b32_e32 v0, v4, v0
	v_lshlrev_b32_e32 v0, 3, v0
	s_waitcnt lgkmcnt(1)
	v_mov_b32_e32 v4, v41
	v_add3_u32 v51, 0, v0, v10
	v_mov_b32_e32 v10, v43
	v_mov_b32_e32 v0, v49
	s_mov_b32 s14, 0x3e9e377a
	s_mov_b32 s15, 0x3f167918
	;; [unrolled: 1-line block ×11, first 2 shown]
	s_waitcnt lgkmcnt(0)
	s_barrier
	s_waitcnt vmcnt(4)
	v_pk_mul_f32 v[76:77], v[40:41], v[8:9]
	s_waitcnt vmcnt(3)
	v_pk_mul_f32 v[56:57], v[12:13], v[36:37] op_sel:[0,1]
	v_pk_mul_f32 v[54:55], v[48:49], v[6:7]
	v_pk_mul_f32 v[58:59], v[14:15], v[38:39] op_sel:[0,1]
	s_waitcnt vmcnt(2)
	v_pk_mul_f32 v[70:71], v[16:17], v[44:45] op_sel:[0,1]
	v_pk_mul_f32 v[72:73], v[18:19], v[46:47] op_sel:[0,1]
	v_mov_b32_e32 v76, v9
	s_waitcnt vmcnt(1)
	v_pk_mul_f32 v[80:81], v[42:43], v[20:21]
	s_waitcnt vmcnt(0)
	v_pk_mul_f32 v[82:83], v[28:29], v[32:33] op_sel:[0,1]
	v_mov_b32_e32 v84, v31
	v_pk_fma_f32 v[86:87], v[12:13], v[36:37], v[56:57] op_sel:[0,0,1] op_sel_hi:[1,0,0]
	v_pk_fma_f32 v[12:13], v[12:13], v[36:37], v[56:57] op_sel:[0,0,1] op_sel_hi:[1,0,0] neg_lo:[1,0,0] neg_hi:[1,0,0]
	v_mov_b32_e32 v78, v21
	v_pk_fma_f32 v[36:37], v[14:15], v[38:39], v[58:59] op_sel:[0,0,1] op_sel_hi:[1,1,0]
	v_pk_fma_f32 v[14:15], v[14:15], v[38:39], v[58:59] op_sel:[0,0,1] op_sel_hi:[1,0,0] neg_lo:[1,0,0] neg_hi:[1,0,0]
	v_pk_fma_f32 v[38:39], v[16:17], v[44:45], v[70:71] op_sel:[0,0,1] op_sel_hi:[1,0,0]
	v_pk_fma_f32 v[16:17], v[16:17], v[44:45], v[70:71] op_sel:[0,0,1] op_sel_hi:[1,0,0] neg_lo:[1,0,0] neg_hi:[1,0,0]
	;; [unrolled: 2-line block ×3, first 2 shown]
	v_mov_b32_e32 v12, v77
	v_pk_mul_f32 v[46:47], v[40:41], v[76:77]
	v_mov_b32_e32 v56, v80
	v_mov_b32_e32 v57, v54
	;; [unrolled: 1-line block ×3, first 2 shown]
	v_pk_fma_f32 v[58:59], v[28:29], v[32:33], v[82:83] op_sel:[0,0,1] op_sel_hi:[1,0,0]
	v_pk_fma_f32 v[28:29], v[28:29], v[32:33], v[82:83] op_sel:[0,0,1] op_sel_hi:[1,0,0] neg_lo:[1,0,0] neg_hi:[1,0,0]
	v_pk_mul_f32 v[32:33], v[34:35], v[84:85] op_sel_hi:[1,0]
	v_mov_b32_e32 v74, v7
	v_pk_mul_f32 v[42:43], v[42:43], v[78:79]
	v_pk_fma_f32 v[40:41], v[40:41], v[8:9], v[12:13]
	v_pk_fma_f32 v[4:5], v[4:5], v[8:9], v[46:47] neg_lo:[0,0,1] neg_hi:[0,0,1]
	v_pk_add_f32 v[8:9], v[56:57], v[54:55]
	v_mov_b32_e32 v37, v15
	v_mov_b32_e32 v45, v19
	v_pk_fma_f32 v[14:15], v[34:35], v[30:31], v[32:33] op_sel:[0,0,1] op_sel_hi:[1,1,0]
	v_pk_fma_f32 v[18:19], v[34:35], v[30:31], v[32:33] op_sel:[0,0,1] op_sel_hi:[1,0,0] neg_lo:[0,0,1] neg_hi:[0,0,1]
	v_pk_mul_f32 v[48:49], v[48:49], v[74:75]
	v_pk_fma_f32 v[10:11], v[10:11], v[20:21], v[42:43] neg_lo:[0,0,1] neg_hi:[0,0,1]
	v_mov_b32_e32 v18, v38
	v_mov_b32_e32 v20, v58
	;; [unrolled: 1-line block ×5, first 2 shown]
	v_pk_fma_f32 v[6:7], v[0:1], v[6:7], v[48:49] neg_lo:[0,0,1] neg_hi:[0,0,1]
	v_mov_b32_e32 v0, v17
	v_pk_add_f32 v[46:47], v[18:19], v[20:21] neg_lo:[0,1] neg_hi:[0,1]
	v_mov_b32_e32 v12, v29
	v_pk_add_f32 v[32:33], v[0:1], v[10:11] neg_lo:[0,1] neg_hi:[0,1]
	v_mov_b32_e32 v0, v47
	v_add_f32_e32 v28, v58, v9
	v_pk_add_f32 v[34:35], v[12:13], v[6:7] neg_lo:[0,1] neg_hi:[0,1]
	v_pk_add_f32 v[46:47], v[46:47], v[0:1]
	v_fma_f32 v7, -0.5, v28, v86
	v_mov_b32_e32 v47, v34
	v_fmamk_f32 v11, v32, 0xbf737871, v7
	v_pk_mul_f32 v[46:47], v[46:47], s[14:15]
	v_fmac_f32_e32 v7, 0x3f737871, v32
	v_pk_add_f32 v[18:19], v[20:21], v[18:19] neg_lo:[0,1] neg_hi:[0,1]
	v_add_f32_e32 v7, v47, v7
	v_mov_b32_e32 v20, v19
	v_sub_f32_e32 v0, v11, v47
	v_add_f32_e32 v12, v46, v7
	v_add_f32_e32 v7, v38, v8
	v_mov_b32_e32 v11, v86
	v_pk_add_f32 v[18:19], v[18:19], v[20:21]
	v_fmac_f32_e32 v11, -0.5, v7
	v_mov_b32_e32 v19, v32
	v_mov_b32_e32 v87, v13
	;; [unrolled: 1-line block ×3, first 2 shown]
	v_fmamk_f32 v7, v34, 0x3f737871, v11
	v_pk_mul_f32 v[18:19], v[18:19], s[14:15]
	v_mov_b32_e32 v59, v29
	v_sub_f32_e32 v7, v7, v19
	v_fmac_f32_e32 v11, 0xbf737871, v34
	v_pk_add_f32 v[32:33], v[86:87], v[38:39]
	v_add_f32_e32 v20, v18, v7
	v_add_f32_e32 v7, v19, v11
	v_pk_add_f32 v[32:33], v[32:33], v[58:59]
	v_mov_b32_e32 v34, v9
	v_mov_b32_e32 v35, v6
	v_mov_b32_e32 v16, v9
	v_add_f32_e32 v18, v18, v7
	v_pk_add_f32 v[32:33], v[32:33], v[34:35]
	v_mov_b32_e32 v34, v8
	v_add_f32_e32 v7, v29, v6
	v_pk_add_f32 v[8:9], v[38:39], v[8:9] neg_lo:[0,1] neg_hi:[0,1]
	v_mov_b32_e32 v38, v17
	v_mov_b32_e32 v39, v10
	;; [unrolled: 1-line block ×5, first 2 shown]
	v_fma_f32 v11, -0.5, v7, v13
	v_pk_add_f32 v[6:7], v[38:39], v[28:29] neg_lo:[0,1] neg_hi:[0,1]
	v_pk_add_f32 v[32:33], v[32:33], v[34:35]
	v_pk_add_f32 v[34:35], v[58:59], v[16:17] neg_lo:[0,1] neg_hi:[0,1]
	v_mov_b32_e32 v16, v7
	v_pk_add_f32 v[6:7], v[6:7], v[16:17]
	v_fmamk_f32 v9, v8, 0x3f737871, v11
	v_mov_b32_e32 v7, v34
	v_pk_mul_f32 v[6:7], v[6:7], s[14:15]
	v_fmac_f32_e32 v11, 0xbf737871, v8
	v_add_f32_e32 v9, v7, v9
	v_sub_f32_e32 v7, v11, v7
	v_add_f32_e32 v0, v46, v0
	v_add_f32_e32 v16, v6, v9
	;; [unrolled: 1-line block ×4, first 2 shown]
	v_fmac_f32_e32 v13, -0.5, v6
	v_pk_add_f32 v[6:7], v[28:29], v[38:39] neg_lo:[0,1] neg_hi:[0,1]
	v_fmamk_f32 v9, v34, 0xbf737871, v13
	v_mov_b32_e32 v10, v7
	v_pk_add_f32 v[6:7], v[6:7], v[10:11]
	v_fmac_f32_e32 v13, 0x3f737871, v34
	v_mov_b32_e32 v7, v8
	v_pk_mul_f32 v[6:7], v[6:7], s[14:15]
	v_pk_add_f32 v[30:31], v[52:53], v[36:37]
	v_add_f32_e32 v8, v7, v9
	v_sub_f32_e32 v7, v13, v7
	v_add_f32_e32 v8, v6, v8
	v_add_f32_e32 v6, v6, v7
	v_mov_b32_e32 v41, v4
	v_pk_mul_f32 v[6:7], v[6:7], s[18:19] op_sel_hi:[0,1]
	v_pk_add_f32 v[30:31], v[30:31], v[44:45]
	v_pk_fma_f32 v[18:19], v[18:19], s[16:17], v[6:7] op_sel_hi:[0,1,1] neg_lo:[0,0,1] neg_hi:[0,0,1]
	v_pk_add_f32 v[6:7], v[44:45], v[14:15]
	v_pk_add_f32 v[28:29], v[36:37], v[40:41] neg_lo:[0,1] neg_hi:[0,1]
	v_pk_add_f32 v[4:5], v[44:45], v[36:37] neg_lo:[0,1] neg_hi:[0,1]
	;; [unrolled: 1-line block ×3, first 2 shown]
	v_pk_add_f32 v[30:31], v[30:31], v[14:15]
	v_pk_fma_f32 v[6:7], v[6:7], 0.5, v[52:53] op_sel_hi:[1,0,1] neg_lo:[1,0,0] neg_hi:[1,0,0]
	v_pk_mul_f32 v[34:35], v[28:29], s[20:21] op_sel_hi:[1,0]
	v_pk_add_f32 v[38:39], v[44:45], v[14:15] neg_lo:[0,1] neg_hi:[0,1]
	s_mov_b32 s16, s15
	v_pk_add_f32 v[44:45], v[36:37], v[44:45] neg_lo:[0,1] neg_hi:[0,1]
	v_pk_add_f32 v[14:15], v[40:41], v[14:15] neg_lo:[0,1] neg_hi:[0,1]
	v_pk_add_f32 v[4:5], v[4:5], v[42:43]
	v_pk_mul_f32 v[42:43], v[38:39], s[16:17] op_sel_hi:[1,0]
	v_pk_add_f32 v[14:15], v[44:45], v[14:15]
	v_pk_add_f32 v[44:45], v[6:7], v[34:35] op_sel:[0,1] op_sel_hi:[1,0] neg_lo:[0,1] neg_hi:[0,1]
	v_pk_add_f32 v[6:7], v[6:7], v[34:35] op_sel:[0,1] op_sel_hi:[1,0]
	v_pk_add_f32 v[30:31], v[30:31], v[40:41]
	v_pk_add_f32 v[34:35], v[6:7], v[42:43] op_sel:[0,1] op_sel_hi:[1,0]
	v_pk_add_f32 v[42:43], v[44:45], v[42:43] op_sel:[0,1] op_sel_hi:[1,0] neg_lo:[0,1] neg_hi:[0,1]
	v_mov_b32_e32 v7, v35
	v_mov_b32_e32 v6, v42
	v_pk_fma_f32 v[44:45], v[14:15], s[14:15], v[6:7] op_sel_hi:[1,0,1]
	v_pk_mul_f32 v[6:7], v[16:17], s[30:31] op_sel_hi:[0,1]
	v_pk_fma_f32 v[16:17], v[0:1], s[22:23], v[6:7] neg_lo:[0,0,1] neg_hi:[0,0,1]
	v_pk_fma_f32 v[6:7], v[0:1], s[22:23], v[6:7] op_sel_hi:[0,1,1]
	v_mov_b32_e32 v17, v7
	v_pk_add_f32 v[10:11], v[30:31], v[32:33]
	v_pk_add_f32 v[6:7], v[44:45], v[16:17]
	v_pk_mul_f32 v[28:29], v[28:29], s[16:17] op_sel_hi:[1,0]
	s_mov_b32 s16, s14
	v_pk_mul_f32 v[8:9], v[8:9], s[18:19] op_sel_hi:[0,1]
	ds_write2_b64 v51, v[10:11], v[6:7] offset1:4
	v_pk_add_f32 v[6:7], v[36:37], v[40:41]
	v_pk_fma_f32 v[10:11], v[20:21], s[16:17], v[8:9] neg_lo:[0,0,1] neg_hi:[0,0,1]
	v_pk_fma_f32 v[8:9], v[20:21], s[16:17], v[8:9] op_sel_hi:[0,1,1]
	v_pk_fma_f32 v[6:7], v[6:7], 0.5, v[52:53] op_sel_hi:[1,0,1] neg_lo:[1,0,0] neg_hi:[1,0,0]
	v_mov_b32_e32 v11, v9
	v_pk_mul_f32 v[8:9], v[38:39], s[20:21] op_sel_hi:[1,0]
	s_mov_b32 s16, 0xbf4f1bbd
	v_pk_add_f32 v[20:21], v[6:7], v[8:9] op_sel:[0,1] op_sel_hi:[1,0] neg_lo:[0,1] neg_hi:[0,1]
	v_pk_add_f32 v[6:7], v[6:7], v[8:9] op_sel:[0,1] op_sel_hi:[1,0]
	v_pk_add_f32 v[8:9], v[20:21], v[28:29] op_sel:[0,1] op_sel_hi:[1,0]
	v_pk_add_f32 v[6:7], v[6:7], v[28:29] op_sel:[0,1] op_sel_hi:[1,0] neg_lo:[0,1] neg_hi:[0,1]
	v_mov_b32_e32 v21, v9
	v_mov_b32_e32 v20, v6
	v_mov_b32_e32 v9, v7
	v_pk_fma_f32 v[20:21], v[4:5], s[14:15], v[20:21] op_sel_hi:[1,0,1]
	v_pk_fma_f32 v[4:5], v[4:5], s[14:15], v[8:9] op_sel_hi:[1,0,1]
	v_pk_add_f32 v[8:9], v[20:21], v[10:11]
	v_pk_add_f32 v[6:7], v[4:5], v[18:19] neg_lo:[0,1] neg_hi:[0,1]
	v_pk_add_f32 v[4:5], v[4:5], v[18:19]
	ds_write2_b64 v51, v[8:9], v[4:5] offset0:8 offset1:12
	s_mov_b32 s17, s15
	v_pk_mul_f32 v[4:5], v[46:47], s[30:31] op_sel_hi:[0,1]
	v_mov_b32_e32 v35, v43
	v_pk_fma_f32 v[4:5], v[12:13], s[16:17], v[4:5] op_sel_hi:[0,1,1] neg_lo:[0,0,1] neg_hi:[0,0,1]
	v_pk_fma_f32 v[8:9], v[14:15], s[14:15], v[34:35] op_sel_hi:[1,0,1]
	v_pk_add_f32 v[14:15], v[30:31], v[32:33] neg_lo:[0,1] neg_hi:[0,1]
	v_pk_add_f32 v[12:13], v[8:9], v[4:5]
	ds_write2_b64 v51, v[12:13], v[14:15] offset0:16 offset1:20
	v_pk_add_f32 v[12:13], v[44:45], v[16:17] neg_lo:[0,1] neg_hi:[0,1]
	v_pk_add_f32 v[10:11], v[20:21], v[10:11] neg_lo:[0,1] neg_hi:[0,1]
	;; [unrolled: 1-line block ×3, first 2 shown]
	ds_write2_b64 v51, v[12:13], v[10:11] offset0:24 offset1:28
	ds_write2_b64 v51, v[6:7], v[8:9] offset0:32 offset1:36
	s_waitcnt lgkmcnt(0)
	s_barrier
	ds_read2_b64 v[14:17], v65 offset0:40 offset1:56
	ds_read2_b64 v[18:21], v65 offset0:80 offset1:96
	;; [unrolled: 1-line block ×3, first 2 shown]
	ds_read_b64 v[28:29], v1
	ds_read_b64 v[0:1], v67 offset:128
	s_and_saveexec_b64 s[14:15], s[0:1]
	s_xor_b64 s[0:1], exec, s[14:15]
	s_andn2_saveexec_b64 s[0:1], s[0:1]
	s_cbranch_execz .LBB0_18
; %bb.17:
	ds_read2_b64 v[2:5], v67 offset0:112 offset1:152
	ds_read2_b64 v[6:9], v67 offset0:32 offset1:72
	s_waitcnt lgkmcnt(1)
	v_mov_b32_e32 v24, v3
	v_mov_b32_e32 v25, v4
	v_mov_b32_e32 v3, v5
.LBB0_18:
	s_or_b64 exec, exec, s[0:1]
	v_add_u32_e32 v4, 40, v27
	v_mov_b32_e32 v70, 3
	v_mul_lo_u32 v34, v26, v4
	v_or_b32_e32 v32, 0x50, v27
	v_lshlrev_b32_sdwa v4, v70, v34 dst_sel:DWORD dst_unused:UNUSED_PAD src0_sel:DWORD src1_sel:BYTE_0
	v_lshlrev_b32_sdwa v30, v70, v34 dst_sel:DWORD dst_unused:UNUSED_PAD src0_sel:DWORD src1_sel:BYTE_1
	v_mul_lo_u32 v42, v26, v32
	v_mov_b32_e32 v71, 0x1000
	v_bfe_u32 v34, v34, 16, 8
	v_mul_lo_u32 v51, v26, v27
	v_lshlrev_b32_sdwa v35, v70, v42 dst_sel:DWORD dst_unused:UNUSED_PAD src0_sel:DWORD src1_sel:BYTE_0
	v_lshlrev_b32_sdwa v32, v70, v42 dst_sel:DWORD dst_unused:UNUSED_PAD src0_sel:DWORD src1_sel:BYTE_1
	v_lshl_or_b32 v34, v34, 3, v71
	v_lshlrev_b32_sdwa v43, v70, v51 dst_sel:DWORD dst_unused:UNUSED_PAD src0_sel:DWORD src1_sel:BYTE_0
	global_load_dwordx2 v[4:5], v4, s[12:13]
	v_lshlrev_b32_sdwa v44, v70, v51 dst_sel:DWORD dst_unused:UNUSED_PAD src0_sel:DWORD src1_sel:BYTE_1
	global_load_dwordx2 v[30:31], v30, s[12:13] offset:2048
	v_bfe_u32 v42, v42, 16, 8
	global_load_dwordx2 v[32:33], v32, s[12:13] offset:2048
	v_lshl_or_b32 v42, v42, 3, v71
	global_load_dwordx2 v[40:41], v35, s[12:13]
	v_add_u32_e32 v53, 56, v27
	global_load_dwordx2 v[34:35], v34, s[12:13]
	s_nop 0
	global_load_dwordx2 v[36:37], v43, s[12:13]
	global_load_dwordx2 v[38:39], v44, s[12:13] offset:2048
	v_add_u32_e32 v43, 0x78, v27
	v_mul_lo_u32 v48, v26, v43
	v_lshlrev_b32_sdwa v49, v70, v48 dst_sel:DWORD dst_unused:UNUSED_PAD src0_sel:DWORD src1_sel:BYTE_0
	global_load_dwordx2 v[42:43], v42, s[12:13]
	v_lshlrev_b32_sdwa v52, v70, v48 dst_sel:DWORD dst_unused:UNUSED_PAD src0_sel:DWORD src1_sel:BYTE_1
	global_load_dwordx2 v[44:45], v49, s[12:13]
	global_load_dwordx2 v[46:47], v52, s[12:13] offset:2048
	v_bfe_u32 v48, v48, 16, 8
	v_lshl_or_b32 v48, v48, 3, v71
	v_mul_lo_u32 v72, v26, v53
	v_mul_lo_u32 v73, v26, v50
	v_bfe_u32 v50, v51, 16, 8
	global_load_dwordx2 v[48:49], v48, s[12:13]
	v_lshlrev_b32_sdwa v54, v70, v72 dst_sel:DWORD dst_unused:UNUSED_PAD src0_sel:DWORD src1_sel:BYTE_0
	v_lshl_or_b32 v50, v50, 3, v71
	v_lshlrev_b32_sdwa v55, v70, v72 dst_sel:DWORD dst_unused:UNUSED_PAD src0_sel:DWORD src1_sel:BYTE_1
	global_load_dwordx2 v[52:53], v54, s[12:13]
	global_load_dwordx2 v[56:57], v55, s[12:13] offset:2048
	global_load_dwordx2 v[58:59], v50, s[12:13]
	v_lshlrev_b32_sdwa v74, v70, v73 dst_sel:DWORD dst_unused:UNUSED_PAD src0_sel:DWORD src1_sel:BYTE_0
	v_lshlrev_b32_sdwa v75, v70, v73 dst_sel:DWORD dst_unused:UNUSED_PAD src0_sel:DWORD src1_sel:BYTE_1
	global_load_dwordx2 v[50:51], v74, s[12:13]
	global_load_dwordx2 v[54:55], v75, s[12:13] offset:2048
	v_bfe_u32 v73, v73, 16, 8
	v_lshl_or_b32 v73, v73, 3, v71
	v_or_b32_e32 v74, 0x60, v27
	v_bfe_u32 v72, v72, 16, 8
	global_load_dwordx2 v[80:81], v73, s[12:13]
	v_mul_lo_u32 v74, v26, v74
	v_lshl_or_b32 v72, v72, 3, v71
	global_load_dwordx2 v[82:83], v72, s[12:13]
	v_add_u32_e32 v75, 0x88, v27
	v_lshlrev_b32_sdwa v76, v70, v74 dst_sel:DWORD dst_unused:UNUSED_PAD src0_sel:DWORD src1_sel:BYTE_0
	v_mul_lo_u32 v75, v26, v75
	v_lshlrev_b32_sdwa v77, v70, v74 dst_sel:DWORD dst_unused:UNUSED_PAD src0_sel:DWORD src1_sel:BYTE_1
	v_bfe_u32 v73, v74, 16, 8
	global_load_dwordx2 v[84:85], v76, s[12:13]
	global_load_dwordx2 v[86:87], v77, s[12:13] offset:2048
	v_lshlrev_b32_sdwa v74, v70, v75 dst_sel:DWORD dst_unused:UNUSED_PAD src0_sel:DWORD src1_sel:BYTE_1
	v_lshl_or_b32 v72, v73, 3, v71
	v_bfe_u32 v73, v75, 16, 8
	v_lshl_or_b32 v73, v73, 3, v71
	global_load_dwordx2 v[88:89], v74, s[12:13] offset:2048
	global_load_dwordx2 v[90:91], v73, s[12:13]
	global_load_dwordx2 v[92:93], v72, s[12:13]
	v_lshlrev_b32_sdwa v72, v70, v75 dst_sel:DWORD dst_unused:UNUSED_PAD src0_sel:DWORD src1_sel:BYTE_0
	global_load_dwordx2 v[94:95], v72, s[12:13]
	v_mul_u32_u24_e32 v72, 3, v27
	v_lshlrev_b32_e32 v96, 3, v72
	global_load_dwordx4 v[72:75], v96, s[28:29] offset:288
	global_load_dwordx4 v[76:79], v96, s[28:29] offset:672
	v_add_u32_e32 v27, -8, v27
	v_cmp_gt_u32_e64 s[0:1], 40, v69
	s_waitcnt vmcnt(24)
	v_mul_f32_e32 v97, v5, v31
	v_mul_f32_e32 v31, v4, v31
	v_fma_f32 v4, v4, v30, -v97
	v_fmac_f32_e32 v31, v5, v30
	s_waitcnt vmcnt(22)
	v_mul_f32_e32 v98, v41, v33
	v_mul_f32_e32 v33, v40, v33
	v_fmac_f32_e32 v33, v41, v32
	v_fma_f32 v30, v40, v32, -v98
	s_waitcnt vmcnt(21)
	v_mul_f32_e32 v5, v31, v35
	v_mul_f32_e32 v97, v4, v35
	v_fma_f32 v98, v34, v4, -v5
	s_waitcnt vmcnt(18)
	v_mul_f32_e32 v32, v33, v43
	v_fma_f32 v99, v42, v30, -v32
	v_mul_f32_e32 v100, v30, v43
	s_waitcnt vmcnt(16)
	v_mul_f32_e32 v30, v45, v47
	v_mul_f32_e32 v32, v44, v47
	;; [unrolled: 1-line block ×3, first 2 shown]
	v_fma_f32 v30, v44, v46, -v30
	v_fmac_f32_e32 v32, v45, v46
	v_fmac_f32_e32 v97, v34, v31
	v_fma_f32 v31, -v37, v39, v4
	v_pk_mul_f32 v[4:5], v[36:37], v[38:39] op_sel:[1,0] op_sel_hi:[0,1]
	v_fmac_f32_e32 v100, v42, v33
	s_waitcnt vmcnt(15)
	v_mul_f32_e32 v33, v32, v49
	v_mul_f32_e32 v101, v30, v49
	v_fma_f32 v47, v48, v30, -v33
	v_fmac_f32_e32 v101, v48, v32
	v_add_f32_e32 v4, v4, v5
	s_waitcnt vmcnt(12)
	v_mul_f32_e32 v48, v31, v59
	v_mul_f32_e32 v30, v53, v57
	v_mul_f32_e32 v32, v52, v57
	v_fmac_f32_e32 v48, v58, v4
	v_mul_f32_e32 v4, v4, v59
	v_fma_f32 v30, v52, v56, -v30
	v_fmac_f32_e32 v32, v53, v56
	v_fma_f32 v52, v58, v31, -v4
	s_waitcnt vmcnt(10)
	v_mul_f32_e32 v4, v50, v54
	global_load_dwordx2 v[56:57], v96, s[28:29] offset:304
	v_fma_f32 v31, -v51, v55, v4
	v_pk_mul_f32 v[4:5], v[50:51], v[54:55] op_sel:[1,0] op_sel_hi:[0,1]
	global_load_dwordx2 v[50:51], v96, s[28:29] offset:688
	v_add_f32_e32 v4, v4, v5
	s_waitcnt vmcnt(11)
	v_mul_f32_e32 v54, v31, v81
	v_fmac_f32_e32 v54, v80, v4
	v_mul_f32_e32 v4, v4, v81
	v_fma_f32 v58, v80, v31, -v4
	s_waitcnt vmcnt(10)
	v_mul_f32_e32 v4, v32, v83
	v_fma_f32 v55, v82, v30, -v4
	s_waitcnt vmcnt(8)
	v_mul_f32_e32 v4, v85, v87
	v_mul_f32_e32 v5, v84, v87
	v_fma_f32 v4, v84, v86, -v4
	v_fmac_f32_e32 v5, v85, v86
	v_cndmask_b32_e64 v46, v27, v69, s[0:1]
	s_waitcnt vmcnt(5)
	v_mul_f32_e32 v27, v5, v93
	v_mul_f32_e32 v93, v4, v93
	v_fmac_f32_e32 v93, v92, v5
	s_waitcnt vmcnt(4)
	v_mul_f32_e32 v5, v94, v89
	v_fma_f32 v69, v92, v4, -v27
	v_mul_f32_e32 v4, v95, v89
	v_fmac_f32_e32 v5, v95, v88
	v_fma_f32 v4, v94, v88, -v4
	v_mul_f32_e32 v27, v5, v91
	v_mul_f32_e32 v59, v30, v83
	v_fma_f32 v88, v90, v4, -v27
	v_mul_f32_e32 v89, v4, v91
	v_mul_lo_u32 v4, v26, v46
	v_fmac_f32_e32 v59, v82, v32
	v_lshlrev_b32_sdwa v27, v70, v4 dst_sel:DWORD dst_unused:UNUSED_PAD src0_sel:DWORD src1_sel:BYTE_0
	v_lshlrev_b32_sdwa v32, v70, v4 dst_sel:DWORD dst_unused:UNUSED_PAD src0_sel:DWORD src1_sel:BYTE_1
	v_bfe_u32 v4, v4, 16, 8
	v_lshl_or_b32 v33, v4, 3, v71
	v_add_u32_e32 v4, 40, v46
	v_fmac_f32_e32 v89, v90, v5
	v_mul_lo_u32 v34, v26, v4
	s_waitcnt vmcnt(3) lgkmcnt(4)
	v_pk_mul_f32 v[4:5], v[72:73], v[14:15] op_sel:[0,1]
	s_waitcnt vmcnt(2)
	v_pk_mul_f32 v[84:85], v[76:77], v[16:17] op_sel:[0,1]
	v_pk_fma_f32 v[80:81], v[72:73], v[14:15], v[4:5] op_sel:[0,0,1] op_sel_hi:[1,1,0]
	v_pk_fma_f32 v[72:73], v[72:73], v[14:15], v[4:5] op_sel:[0,0,1] op_sel_hi:[1,0,0] neg_lo:[1,0,0] neg_hi:[1,0,0]
	s_waitcnt lgkmcnt(3)
	v_pk_mul_f32 v[4:5], v[74:75], v[18:19] op_sel:[0,1]
	v_pk_fma_f32 v[86:87], v[76:77], v[16:17], v[84:85] op_sel:[0,0,1] op_sel_hi:[1,1,0]
	v_pk_fma_f32 v[82:83], v[74:75], v[18:19], v[4:5] op_sel:[0,0,1] op_sel_hi:[1,1,0]
	v_pk_fma_f32 v[74:75], v[74:75], v[18:19], v[4:5] op_sel:[0,0,1] op_sel_hi:[1,0,0] neg_lo:[1,0,0] neg_hi:[1,0,0]
	v_lshlrev_b32_sdwa v17, v70, v34 dst_sel:DWORD dst_unused:UNUSED_PAD src0_sel:DWORD src1_sel:BYTE_0
	global_load_dwordx2 v[14:15], v27, s[12:13]
	global_load_dwordx2 v[18:19], v32, s[12:13] offset:2048
	global_load_dwordx2 v[4:5], v33, s[12:13]
	global_load_dwordx2 v[30:31], v17, s[12:13]
	v_bfe_u32 v27, v34, 16, 8
	v_add_u32_e32 v32, 0x50, v46
	v_lshlrev_b32_sdwa v17, v70, v34 dst_sel:DWORD dst_unused:UNUSED_PAD src0_sel:DWORD src1_sel:BYTE_1
	v_lshl_or_b32 v27, v27, 3, v71
	v_mul_lo_u32 v40, v26, v32
	v_lshlrev_b32_sdwa v41, v70, v40 dst_sel:DWORD dst_unused:UNUSED_PAD src0_sel:DWORD src1_sel:BYTE_0
	v_lshlrev_b32_sdwa v42, v70, v40 dst_sel:DWORD dst_unused:UNUSED_PAD src0_sel:DWORD src1_sel:BYTE_1
	global_load_dwordx2 v[34:35], v17, s[12:13] offset:2048
	global_load_dwordx2 v[32:33], v27, s[12:13]
	global_load_dwordx2 v[36:37], v41, s[12:13]
	global_load_dwordx2 v[38:39], v42, s[12:13] offset:2048
	v_add_u32_e32 v27, 0x78, v46
	v_bfe_u32 v17, v40, 16, 8
	v_mul_lo_u32 v26, v26, v27
	v_lshl_or_b32 v17, v17, 3, v71
	v_lshlrev_b32_sdwa v49, v70, v26 dst_sel:DWORD dst_unused:UNUSED_PAD src0_sel:DWORD src1_sel:BYTE_0
	v_lshlrev_b32_sdwa v53, v70, v26 dst_sel:DWORD dst_unused:UNUSED_PAD src0_sel:DWORD src1_sel:BYTE_1
	v_bfe_u32 v26, v26, 16, 8
	v_lshl_or_b32 v70, v26, 3, v71
	global_load_dwordx2 v[26:27], v17, s[12:13]
	global_load_dwordx2 v[42:43], v49, s[12:13]
	global_load_dwordx2 v[44:45], v53, s[12:13] offset:2048
	global_load_dwordx2 v[40:41], v70, s[12:13]
	v_pk_mul_f32 v[70:71], v[78:79], v[20:21] op_sel:[0,1]
	v_pk_fma_f32 v[16:17], v[76:77], v[16:17], v[84:85] op_sel:[0,0,1] op_sel_hi:[1,0,0] neg_lo:[1,0,0] neg_hi:[1,0,0]
	v_pk_fma_f32 v[76:77], v[78:79], v[20:21], v[70:71] op_sel:[0,0,1] op_sel_hi:[1,1,0]
	v_pk_fma_f32 v[20:21], v[78:79], v[20:21], v[70:71] op_sel:[0,0,1] op_sel_hi:[1,0,0] neg_lo:[1,0,0] neg_hi:[1,0,0]
	v_mov_b32_e32 v81, v73
	v_mov_b32_e32 v83, v75
	;; [unrolled: 1-line block ×4, first 2 shown]
	s_waitcnt lgkmcnt(0)
	s_barrier
	s_waitcnt vmcnt(13)
	v_pk_mul_f32 v[70:71], v[56:57], v[10:11] op_sel:[0,1]
	s_nop 0
	v_pk_fma_f32 v[72:73], v[56:57], v[10:11], v[70:71] op_sel:[0,0,1] op_sel_hi:[1,1,0]
	v_pk_fma_f32 v[10:11], v[56:57], v[10:11], v[70:71] op_sel:[0,0,1] op_sel_hi:[1,0,0] neg_lo:[1,0,0] neg_hi:[1,0,0]
	s_nop 0
	v_mov_b32_e32 v73, v11
	v_pk_add_f32 v[10:11], v[28:29], v[82:83] neg_lo:[0,1] neg_hi:[0,1]
	v_pk_add_f32 v[56:57], v[80:81], v[72:73] neg_lo:[0,1] neg_hi:[0,1]
	v_pk_fma_f32 v[28:29], v[28:29], 2.0, v[10:11] op_sel_hi:[1,0,1] neg_lo:[0,0,1] neg_hi:[0,0,1]
	v_pk_fma_f32 v[70:71], v[80:81], 2.0, v[56:57] op_sel_hi:[1,0,1] neg_lo:[0,0,1] neg_hi:[0,0,1]
	v_sub_f32_e32 v20, v11, v56
	v_pk_add_f32 v[70:71], v[28:29], v[70:71] neg_lo:[0,1] neg_hi:[0,1]
	v_add_f32_e32 v16, v10, v57
	v_pk_fma_f32 v[28:29], v[28:29], 2.0, v[70:71] op_sel_hi:[1,0,1] neg_lo:[0,0,1] neg_hi:[0,0,1]
	v_fma_f32 v11, v11, 2.0, -v20
	v_pk_mul_f32 v[48:49], v[28:29], v[48:49] op_sel_hi:[1,0]
	v_lshl_add_u32 v56, v66, 3, v68
	v_pk_fma_f32 v[72:73], v[28:29], v[52:53], v[48:49] op_sel:[0,0,1] op_sel_hi:[1,1,0]
	v_pk_fma_f32 v[28:29], v[28:29], v[52:53], v[48:49] op_sel:[0,0,1] op_sel_hi:[1,0,0] neg_lo:[0,0,1] neg_hi:[0,0,1]
	v_mul_f32_e32 v52, v20, v101
	v_fma_f32 v28, v10, 2.0, -v16
	v_fmac_f32_e32 v52, v16, v47
	v_mul_f32_e32 v16, v16, v101
	v_fma_f32 v53, v20, v47, -v16
	s_waitcnt vmcnt(12)
	v_pk_mul_f32 v[16:17], v[50:51], v[12:13] op_sel:[0,1]
	v_mul_f32_e32 v10, v11, v97
	v_pk_fma_f32 v[20:21], v[50:51], v[12:13], v[16:17] op_sel:[0,0,1] op_sel_hi:[1,1,0]
	v_pk_fma_f32 v[12:13], v[50:51], v[12:13], v[16:17] op_sel:[0,0,1] op_sel_hi:[1,0,0] neg_lo:[1,0,0] neg_hi:[1,0,0]
	v_mul_f32_e32 v48, v28, v97
	v_mov_b32_e32 v21, v13
	v_pk_add_f32 v[12:13], v[0:1], v[76:77] neg_lo:[0,1] neg_hi:[0,1]
	v_pk_add_f32 v[16:17], v[86:87], v[20:21] neg_lo:[0,1] neg_hi:[0,1]
	v_pk_fma_f32 v[0:1], v[0:1], 2.0, v[12:13] op_sel_hi:[1,0,1] neg_lo:[0,0,1] neg_hi:[0,0,1]
	v_pk_fma_f32 v[20:21], v[86:87], 2.0, v[16:17] op_sel_hi:[1,0,1] neg_lo:[0,0,1] neg_hi:[0,0,1]
	v_fmac_f32_e32 v10, v28, v98
	v_pk_add_f32 v[20:21], v[0:1], v[20:21] neg_lo:[0,1] neg_hi:[0,1]
	v_add_f32_e32 v28, v12, v17
	v_pk_fma_f32 v[0:1], v[0:1], 2.0, v[20:21] op_sel_hi:[1,0,1] neg_lo:[0,0,1] neg_hi:[0,0,1]
	v_sub_f32_e32 v47, v13, v16
	v_fma_f32 v50, v12, 2.0, -v28
	v_fma_f32 v51, v13, 2.0, -v47
	v_pk_mul_f32 v[12:13], v[0:1], v[54:55] op_sel_hi:[1,0]
	v_fma_f32 v11, v11, v98, -v48
	v_pk_fma_f32 v[16:17], v[0:1], v[58:59], v[12:13] op_sel:[0,0,1] op_sel_hi:[1,1,0]
	v_pk_fma_f32 v[0:1], v[0:1], v[58:59], v[12:13] op_sel:[0,0,1] op_sel_hi:[1,0,0] neg_lo:[0,0,1] neg_hi:[0,0,1]
	v_mul_f32_e32 v13, v21, v93
	v_mul_f32_e32 v17, v20, v93
	;; [unrolled: 1-line block ×3, first 2 shown]
	v_fmac_f32_e32 v13, v20, v69
	v_fma_f32 v20, v21, v69, -v17
	v_mul_f32_e32 v21, v47, v89
	v_mul_f32_e32 v17, v28, v89
	;; [unrolled: 1-line block ×4, first 2 shown]
	v_fmac_f32_e32 v0, v50, v55
	v_mul_f32_e32 v12, v50, v59
	v_fmac_f32_e32 v21, v28, v88
	v_fma_f32 v28, v47, v88, -v17
	v_mov_b32_e32 v73, v29
	v_mov_b32_e32 v17, v1
	v_fmac_f32_e32 v48, v70, v99
	v_fma_f32 v49, v71, v99, -v49
	v_fma_f32 v12, v51, v55, -v12
	ds_write2_b64 v65, v[72:73], v[10:11] offset1:40
	ds_write2_b64 v65, v[48:49], v[52:53] offset0:80 offset1:120
	ds_write_b64 v67, v[16:17] offset:128
	ds_write2_b32 v56, v0, v12 offset0:112 offset1:113
	ds_write2_b32 v56, v13, v20 offset0:192 offset1:193
	v_add_u32_e32 v0, 0x400, v56
	ds_write2_b32 v0, v21, v28 offset0:16 offset1:17
	s_and_saveexec_b64 s[0:1], vcc
	s_cbranch_execz .LBB0_20
; %bb.19:
	v_mul_i32_i24_e32 v0, 3, v46
	v_mov_b32_e32 v1, 0
	v_lshl_add_u64 v[0:1], v[0:1], 3, s[28:29]
	global_load_dwordx4 v[10:13], v[0:1], off offset:288
	global_load_dwordx2 v[16:17], v[0:1], off offset:304
	v_mov_b32_e32 v0, v9
	s_waitcnt vmcnt(3)
	v_mul_f32_e32 v1, v43, v45
	v_mul_f32_e32 v9, v42, v45
	;; [unrolled: 1-line block ×4, first 2 shown]
	v_pk_mul_f32 v[20:21], v[14:15], v[18:19] op_sel:[1,0] op_sel_hi:[0,1]
	v_mul_f32_e32 v28, v37, v39
	v_mul_f32_e32 v39, v31, v35
	;; [unrolled: 1-line block ×3, first 2 shown]
	v_fmac_f32_e32 v9, v43, v44
	v_fmac_f32_e32 v29, v37, v38
	v_fma_f32 v15, -v15, v19, v45
	v_add_f32_e32 v19, v20, v21
	v_fma_f32 v1, v42, v44, -v1
	v_fma_f32 v18, v36, v38, -v28
	v_fma_f32 v28, v30, v34, -v39
	v_fmac_f32_e32 v35, v31, v34
	s_waitcnt vmcnt(2)
	v_mul_f32_e32 v20, v9, v41
	v_mul_f32_e32 v21, v29, v27
	;; [unrolled: 1-line block ×7, first 2 shown]
	v_fma_f32 v36, v40, v1, -v20
	v_fma_f32 v37, v26, v18, -v21
	;; [unrolled: 1-line block ×3, first 2 shown]
	v_fmac_f32_e32 v14, v4, v19
	v_mul_f32_e32 v33, v28, v33
	v_fmac_f32_e32 v30, v40, v9
	v_fmac_f32_e32 v31, v26, v29
	v_fma_f32 v28, v32, v28, -v27
	v_fmac_f32_e32 v33, v32, v35
	s_waitcnt vmcnt(1)
	v_pk_mul_f32 v[4:5], v[24:25], v[12:13] op_sel_hi:[0,1]
	v_pk_mul_f32 v[0:1], v[0:1], v[10:11] op_sel_hi:[0,1]
	s_waitcnt vmcnt(0)
	v_pk_mul_f32 v[20:21], v[2:3], v[16:17] op_sel:[1,0]
	v_pk_fma_f32 v[26:27], v[8:9], v[10:11], v[0:1] op_sel:[0,0,1] op_sel_hi:[1,1,0]
	v_pk_fma_f32 v[0:1], v[8:9], v[10:11], v[0:1] op_sel:[0,0,1] op_sel_hi:[0,1,0] neg_lo:[1,0,0] neg_hi:[1,0,0]
	v_pk_fma_f32 v[8:9], v[24:25], v[16:17], v[20:21] op_sel:[1,0,1] op_sel_hi:[1,1,0]
	v_pk_fma_f32 v[10:11], v[24:25], v[16:17], v[20:21] op_sel:[1,0,1] op_sel_hi:[1,1,0] neg_lo:[1,0,0] neg_hi:[1,0,0]
	;; [unrolled: 2-line block ×3, first 2 shown]
	v_mov_b32_e32 v27, v1
	v_mov_b32_e32 v9, v11
	;; [unrolled: 1-line block ×3, first 2 shown]
	v_pk_add_f32 v[0:1], v[26:27], v[8:9] neg_lo:[0,1] neg_hi:[0,1]
	v_pk_add_f32 v[2:3], v[6:7], v[16:17] neg_lo:[0,1] neg_hi:[0,1]
	s_nop 0
	v_sub_f32_e32 v8, v3, v0
	v_add_f32_e32 v9, v2, v1
	v_pk_fma_f32 v[4:5], v[6:7], 2.0, v[2:3] op_sel_hi:[1,0,1] neg_lo:[0,0,1] neg_hi:[0,0,1]
	v_pk_fma_f32 v[0:1], v[26:27], 2.0, v[0:1] op_sel_hi:[1,0,1] neg_lo:[0,0,1] neg_hi:[0,0,1]
	v_mul_f32_e32 v7, v9, v30
	v_pk_add_f32 v[0:1], v[4:5], v[0:1] neg_lo:[0,1] neg_hi:[0,1]
	v_mul_f32_e32 v6, v8, v30
	v_fma_f32 v10, v3, 2.0, -v8
	v_fma_f32 v11, v2, 2.0, -v9
	v_mul_f32_e32 v3, v0, v31
	v_mul_f32_e32 v2, v1, v31
	v_pk_fma_f32 v[4:5], v[4:5], 2.0, v[0:1] op_sel_hi:[1,0,1] neg_lo:[0,0,1] neg_hi:[0,0,1]
	v_fma_f32 v7, v8, v36, -v7
	v_fmac_f32_e32 v6, v9, v36
	v_mul_f32_e32 v9, v11, v33
	v_mul_f32_e32 v8, v10, v33
	v_fma_f32 v3, v1, v37, -v3
	v_fmac_f32_e32 v2, v0, v37
	v_pk_mul_f32 v[0:1], v[4:5], v[14:15] op_sel_hi:[1,0]
	v_fma_f32 v9, v10, v28, -v9
	v_fmac_f32_e32 v8, v11, v28
	v_pk_fma_f32 v[10:11], v[4:5], v[18:19], v[0:1] op_sel:[0,0,1] op_sel_hi:[1,1,0]
	v_pk_fma_f32 v[0:1], v[4:5], v[18:19], v[0:1] op_sel:[0,0,1] op_sel_hi:[1,0,0] neg_lo:[0,0,1] neg_hi:[0,0,1]
	s_nop 0
	v_mov_b32_e32 v11, v1
	ds_write_b64 v67, v[10:11] offset:256
	ds_write2_b64 v65, v[8:9], v[2:3] offset0:72 offset1:112
	ds_write_b64 v65, v[6:7] offset:1216
.LBB0_20:
	s_or_b64 exec, exec, s[0:1]
	s_waitcnt lgkmcnt(0)
	s_barrier
	s_and_saveexec_b64 s[0:1], s[2:3]
	s_cbranch_execz .LBB0_22
; %bb.21:
	s_waitcnt vmcnt(9)
	v_mad_u64_u32 v[4:5], s[2:3], s6, v22, 0
	v_mov_b32_e32 v0, v5
	v_mad_u64_u32 v[0:1], s[2:3], s7, v22, v[0:1]
	v_mad_u64_u32 v[6:7], s[2:3], s4, v60, 0
	s_mul_i32 s0, s9, s26
	s_mul_hi_u32 s1, s8, s26
	v_mov_b32_e32 v5, v0
	v_mov_b32_e32 v0, v7
	s_add_i32 s1, s1, s0
	s_mul_i32 s0, s8, s26
	v_mad_u64_u32 v[0:1], s[2:3], s5, v60, v[0:1]
	v_mov_b32_e32 v7, v0
	v_mul_u32_u24_e32 v0, 0x500, v22
	s_lshl_b64 s[0:1], s[0:1], 3
	v_add3_u32 v10, 0, v0, v64
	s_add_u32 s2, s10, s0
	s_addc_u32 s3, s11, s1
	s_lshl_b64 s[0:1], s[24:25], 3
	ds_read2_b64 v[0:3], v10 offset1:16
	s_add_u32 s0, s2, s0
	s_addc_u32 s1, s3, s1
	v_lshl_add_u64 v[4:5], v[4:5], 3, s[0:1]
	v_lshl_add_u64 v[6:7], v[6:7], 3, v[4:5]
	s_waitcnt lgkmcnt(0)
	global_store_dwordx2 v[6:7], v[0:1], off
	v_mad_u64_u32 v[0:1], s[0:1], s4, v63, 0
	v_mov_b32_e32 v6, v1
	v_mad_u64_u32 v[6:7], s[0:1], s5, v63, v[6:7]
	v_mov_b32_e32 v1, v6
	v_lshl_add_u64 v[0:1], v[0:1], 3, v[4:5]
	global_store_dwordx2 v[0:1], v[2:3], off
	v_mad_u64_u32 v[6:7], s[0:1], s4, v62, 0
	ds_read2_b64 v[0:3], v10 offset0:32 offset1:48
	v_mov_b32_e32 v8, v7
	v_mad_u64_u32 v[8:9], s[0:1], s5, v62, v[8:9]
	v_mov_b32_e32 v7, v8
	v_lshl_add_u64 v[6:7], v[6:7], 3, v[4:5]
	s_waitcnt lgkmcnt(0)
	global_store_dwordx2 v[6:7], v[0:1], off
	v_mad_u64_u32 v[0:1], s[0:1], s4, v61, 0
	v_mov_b32_e32 v6, v1
	v_mad_u64_u32 v[6:7], s[0:1], s5, v61, v[6:7]
	v_mov_b32_e32 v1, v6
	v_lshl_add_u64 v[0:1], v[0:1], 3, v[4:5]
	global_store_dwordx2 v[0:1], v[2:3], off
	v_mad_u64_u32 v[6:7], s[0:1], s4, v23, 0
	ds_read2_b64 v[0:3], v10 offset0:64 offset1:80
	v_mov_b32_e32 v8, v7
	v_mad_u64_u32 v[8:9], s[0:1], s5, v23, v[8:9]
	v_mov_b32_e32 v7, v8
	v_lshl_add_u64 v[6:7], v[6:7], 3, v[4:5]
	s_waitcnt lgkmcnt(0)
	global_store_dwordx2 v[6:7], v[0:1], off
	v_add_u32_e32 v7, 0x50, v60
	v_mad_u64_u32 v[0:1], s[0:1], s4, v7, 0
	v_mov_b32_e32 v6, v1
	v_mad_u64_u32 v[6:7], s[0:1], s5, v7, v[6:7]
	v_mov_b32_e32 v1, v6
	v_lshl_add_u64 v[0:1], v[0:1], 3, v[4:5]
	v_or_b32_e32 v9, 0x60, v60
	global_store_dwordx2 v[0:1], v[2:3], off
	v_mad_u64_u32 v[6:7], s[0:1], s4, v9, 0
	ds_read2_b64 v[0:3], v10 offset0:96 offset1:112
	v_mov_b32_e32 v8, v7
	v_mad_u64_u32 v[8:9], s[0:1], s5, v9, v[8:9]
	v_mov_b32_e32 v7, v8
	v_lshl_add_u64 v[6:7], v[6:7], 3, v[4:5]
	s_waitcnt lgkmcnt(0)
	global_store_dwordx2 v[6:7], v[0:1], off
	v_add_u32_e32 v7, 0x70, v60
	v_mad_u64_u32 v[0:1], s[0:1], s4, v7, 0
	v_mov_b32_e32 v6, v1
	v_mad_u64_u32 v[6:7], s[0:1], s5, v7, v[6:7]
	v_mov_b32_e32 v1, v6
	v_lshl_add_u64 v[0:1], v[0:1], 3, v[4:5]
	v_or_b32_e32 v9, 0x80, v60
	global_store_dwordx2 v[0:1], v[2:3], off
	v_mad_u64_u32 v[6:7], s[0:1], s4, v9, 0
	ds_read2_b64 v[0:3], v10 offset0:128 offset1:144
	v_mov_b32_e32 v8, v7
	v_mad_u64_u32 v[8:9], s[0:1], s5, v9, v[8:9]
	v_mov_b32_e32 v7, v8
	v_lshl_add_u64 v[6:7], v[6:7], 3, v[4:5]
	s_waitcnt lgkmcnt(0)
	global_store_dwordx2 v[6:7], v[0:1], off
	v_add_u32_e32 v7, 0x90, v60
	v_mad_u64_u32 v[0:1], s[0:1], s4, v7, 0
	v_mov_b32_e32 v6, v1
	v_mad_u64_u32 v[6:7], s[0:1], s5, v7, v[6:7]
	v_mov_b32_e32 v1, v6
	v_lshl_add_u64 v[0:1], v[0:1], 3, v[4:5]
	global_store_dwordx2 v[0:1], v[2:3], off
.LBB0_22:
	s_endpgm
	.section	.rodata,"a",@progbits
	.p2align	6, 0x0
	.amdhsa_kernel fft_rtc_back_len160_factors_4_10_4_wgs_192_tpt_16_sp_op_CI_CI_sbcc_twdbase8_3step
		.amdhsa_group_segment_fixed_size 0
		.amdhsa_private_segment_fixed_size 0
		.amdhsa_kernarg_size 112
		.amdhsa_user_sgpr_count 2
		.amdhsa_user_sgpr_dispatch_ptr 0
		.amdhsa_user_sgpr_queue_ptr 0
		.amdhsa_user_sgpr_kernarg_segment_ptr 1
		.amdhsa_user_sgpr_dispatch_id 0
		.amdhsa_user_sgpr_kernarg_preload_length 0
		.amdhsa_user_sgpr_kernarg_preload_offset 0
		.amdhsa_user_sgpr_private_segment_size 0
		.amdhsa_uses_dynamic_stack 0
		.amdhsa_enable_private_segment 0
		.amdhsa_system_sgpr_workgroup_id_x 1
		.amdhsa_system_sgpr_workgroup_id_y 0
		.amdhsa_system_sgpr_workgroup_id_z 0
		.amdhsa_system_sgpr_workgroup_info 0
		.amdhsa_system_vgpr_workitem_id 0
		.amdhsa_next_free_vgpr 102
		.amdhsa_next_free_sgpr 57
		.amdhsa_accum_offset 104
		.amdhsa_reserve_vcc 1
		.amdhsa_float_round_mode_32 0
		.amdhsa_float_round_mode_16_64 0
		.amdhsa_float_denorm_mode_32 3
		.amdhsa_float_denorm_mode_16_64 3
		.amdhsa_dx10_clamp 1
		.amdhsa_ieee_mode 1
		.amdhsa_fp16_overflow 0
		.amdhsa_tg_split 0
		.amdhsa_exception_fp_ieee_invalid_op 0
		.amdhsa_exception_fp_denorm_src 0
		.amdhsa_exception_fp_ieee_div_zero 0
		.amdhsa_exception_fp_ieee_overflow 0
		.amdhsa_exception_fp_ieee_underflow 0
		.amdhsa_exception_fp_ieee_inexact 0
		.amdhsa_exception_int_div_zero 0
	.end_amdhsa_kernel
	.text
.Lfunc_end0:
	.size	fft_rtc_back_len160_factors_4_10_4_wgs_192_tpt_16_sp_op_CI_CI_sbcc_twdbase8_3step, .Lfunc_end0-fft_rtc_back_len160_factors_4_10_4_wgs_192_tpt_16_sp_op_CI_CI_sbcc_twdbase8_3step
                                        ; -- End function
	.section	.AMDGPU.csdata,"",@progbits
; Kernel info:
; codeLenInByte = 7716
; NumSgprs: 63
; NumVgprs: 102
; NumAgprs: 0
; TotalNumVgprs: 102
; ScratchSize: 0
; MemoryBound: 0
; FloatMode: 240
; IeeeMode: 1
; LDSByteSize: 0 bytes/workgroup (compile time only)
; SGPRBlocks: 7
; VGPRBlocks: 12
; NumSGPRsForWavesPerEU: 63
; NumVGPRsForWavesPerEU: 102
; AccumOffset: 104
; Occupancy: 4
; WaveLimiterHint : 1
; COMPUTE_PGM_RSRC2:SCRATCH_EN: 0
; COMPUTE_PGM_RSRC2:USER_SGPR: 2
; COMPUTE_PGM_RSRC2:TRAP_HANDLER: 0
; COMPUTE_PGM_RSRC2:TGID_X_EN: 1
; COMPUTE_PGM_RSRC2:TGID_Y_EN: 0
; COMPUTE_PGM_RSRC2:TGID_Z_EN: 0
; COMPUTE_PGM_RSRC2:TIDIG_COMP_CNT: 0
; COMPUTE_PGM_RSRC3_GFX90A:ACCUM_OFFSET: 25
; COMPUTE_PGM_RSRC3_GFX90A:TG_SPLIT: 0
	.text
	.p2alignl 6, 3212836864
	.fill 256, 4, 3212836864
	.type	__hip_cuid_43ee2851c21b2251,@object ; @__hip_cuid_43ee2851c21b2251
	.section	.bss,"aw",@nobits
	.globl	__hip_cuid_43ee2851c21b2251
__hip_cuid_43ee2851c21b2251:
	.byte	0                               ; 0x0
	.size	__hip_cuid_43ee2851c21b2251, 1

	.ident	"AMD clang version 19.0.0git (https://github.com/RadeonOpenCompute/llvm-project roc-6.4.0 25133 c7fe45cf4b819c5991fe208aaa96edf142730f1d)"
	.section	".note.GNU-stack","",@progbits
	.addrsig
	.addrsig_sym __hip_cuid_43ee2851c21b2251
	.amdgpu_metadata
---
amdhsa.kernels:
  - .agpr_count:     0
    .args:
      - .actual_access:  read_only
        .address_space:  global
        .offset:         0
        .size:           8
        .value_kind:     global_buffer
      - .address_space:  global
        .offset:         8
        .size:           8
        .value_kind:     global_buffer
      - .offset:         16
        .size:           8
        .value_kind:     by_value
      - .actual_access:  read_only
        .address_space:  global
        .offset:         24
        .size:           8
        .value_kind:     global_buffer
      - .actual_access:  read_only
        .address_space:  global
        .offset:         32
        .size:           8
        .value_kind:     global_buffer
      - .actual_access:  read_only
        .address_space:  global
        .offset:         40
        .size:           8
        .value_kind:     global_buffer
      - .offset:         48
        .size:           8
        .value_kind:     by_value
      - .actual_access:  read_only
        .address_space:  global
        .offset:         56
        .size:           8
        .value_kind:     global_buffer
      - .actual_access:  read_only
        .address_space:  global
        .offset:         64
        .size:           8
        .value_kind:     global_buffer
      - .offset:         72
        .size:           4
        .value_kind:     by_value
      - .actual_access:  read_only
        .address_space:  global
        .offset:         80
        .size:           8
        .value_kind:     global_buffer
      - .actual_access:  read_only
        .address_space:  global
        .offset:         88
        .size:           8
        .value_kind:     global_buffer
      - .actual_access:  read_only
        .address_space:  global
        .offset:         96
        .size:           8
        .value_kind:     global_buffer
      - .actual_access:  write_only
        .address_space:  global
        .offset:         104
        .size:           8
        .value_kind:     global_buffer
    .group_segment_fixed_size: 0
    .kernarg_segment_align: 8
    .kernarg_segment_size: 112
    .language:       OpenCL C
    .language_version:
      - 2
      - 0
    .max_flat_workgroup_size: 192
    .name:           fft_rtc_back_len160_factors_4_10_4_wgs_192_tpt_16_sp_op_CI_CI_sbcc_twdbase8_3step
    .private_segment_fixed_size: 0
    .sgpr_count:     63
    .sgpr_spill_count: 0
    .symbol:         fft_rtc_back_len160_factors_4_10_4_wgs_192_tpt_16_sp_op_CI_CI_sbcc_twdbase8_3step.kd
    .uniform_work_group_size: 1
    .uses_dynamic_stack: false
    .vgpr_count:     102
    .vgpr_spill_count: 0
    .wavefront_size: 64
amdhsa.target:   amdgcn-amd-amdhsa--gfx950
amdhsa.version:
  - 1
  - 2
...

	.end_amdgpu_metadata
